;; amdgpu-corpus repo=ROCm/rocFFT kind=compiled arch=gfx1201 opt=O3
	.text
	.amdgcn_target "amdgcn-amd-amdhsa--gfx1201"
	.amdhsa_code_object_version 6
	.protected	fft_rtc_fwd_len2002_factors_2_13_7_11_wgs_182_tpt_182_halfLds_half_op_CI_CI_unitstride_sbrr_dirReg ; -- Begin function fft_rtc_fwd_len2002_factors_2_13_7_11_wgs_182_tpt_182_halfLds_half_op_CI_CI_unitstride_sbrr_dirReg
	.globl	fft_rtc_fwd_len2002_factors_2_13_7_11_wgs_182_tpt_182_halfLds_half_op_CI_CI_unitstride_sbrr_dirReg
	.p2align	8
	.type	fft_rtc_fwd_len2002_factors_2_13_7_11_wgs_182_tpt_182_halfLds_half_op_CI_CI_unitstride_sbrr_dirReg,@function
fft_rtc_fwd_len2002_factors_2_13_7_11_wgs_182_tpt_182_halfLds_half_op_CI_CI_unitstride_sbrr_dirReg: ; @fft_rtc_fwd_len2002_factors_2_13_7_11_wgs_182_tpt_182_halfLds_half_op_CI_CI_unitstride_sbrr_dirReg
; %bb.0:
	s_clause 0x2
	s_load_b128 s[8:11], s[0:1], 0x0
	s_load_b128 s[4:7], s[0:1], 0x58
	;; [unrolled: 1-line block ×3, first 2 shown]
	v_mul_u32_u24_e32 v1, 0x169, v0
	v_mov_b32_e32 v6, 0
	v_mov_b32_e32 v7, 0
	s_delay_alu instid0(VALU_DEP_3) | instskip(NEXT) | instid1(VALU_DEP_1)
	v_lshrrev_b32_e32 v1, 16, v1
	v_dual_mov_b32 v3, 0 :: v_dual_add_nc_u32 v8, ttmp9, v1
	s_delay_alu instid0(VALU_DEP_1) | instskip(SKIP_2) | instid1(VALU_DEP_1)
	v_mov_b32_e32 v9, v3
	s_wait_kmcnt 0x0
	v_cmp_lt_u64_e64 s2, s[10:11], 2
	s_and_b32 vcc_lo, exec_lo, s2
	s_cbranch_vccnz .LBB0_8
; %bb.1:
	s_load_b64 s[2:3], s[0:1], 0x10
	v_mov_b32_e32 v6, 0
	v_mov_b32_e32 v7, 0
	s_delay_alu instid0(VALU_DEP_2)
	v_mov_b32_e32 v1, v6
	s_add_nc_u64 s[16:17], s[14:15], 8
	s_add_nc_u64 s[18:19], s[12:13], 8
	s_mov_b64 s[20:21], 1
	v_mov_b32_e32 v2, v7
	s_wait_kmcnt 0x0
	s_add_nc_u64 s[22:23], s[2:3], 8
	s_mov_b32 s3, 0
.LBB0_2:                                ; =>This Inner Loop Header: Depth=1
	s_load_b64 s[24:25], s[22:23], 0x0
	s_wait_kmcnt 0x0
	s_delay_alu instid0(VALU_DEP_1) | instskip(NEXT) | instid1(VALU_DEP_1)
	v_or_b32_e32 v4, s25, v9
	v_cmp_ne_u64_e32 vcc_lo, 0, v[3:4]
                                        ; implicit-def: $vgpr4_vgpr5
	s_and_saveexec_b32 s2, vcc_lo
	s_wait_alu 0xfffe
	s_xor_b32 s26, exec_lo, s2
	s_cbranch_execz .LBB0_4
; %bb.3:                                ;   in Loop: Header=BB0_2 Depth=1
	s_cvt_f32_u32 s2, s24
	s_cvt_f32_u32 s27, s25
	s_sub_nc_u64 s[30:31], 0, s[24:25]
	s_wait_alu 0xfffe
	s_delay_alu instid0(SALU_CYCLE_1) | instskip(SKIP_1) | instid1(SALU_CYCLE_2)
	s_fmamk_f32 s2, s27, 0x4f800000, s2
	s_wait_alu 0xfffe
	v_s_rcp_f32 s2, s2
	s_delay_alu instid0(TRANS32_DEP_1) | instskip(SKIP_1) | instid1(SALU_CYCLE_2)
	s_mul_f32 s2, s2, 0x5f7ffffc
	s_wait_alu 0xfffe
	s_mul_f32 s27, s2, 0x2f800000
	s_wait_alu 0xfffe
	s_delay_alu instid0(SALU_CYCLE_2) | instskip(SKIP_1) | instid1(SALU_CYCLE_2)
	s_trunc_f32 s27, s27
	s_wait_alu 0xfffe
	s_fmamk_f32 s2, s27, 0xcf800000, s2
	s_cvt_u32_f32 s29, s27
	s_wait_alu 0xfffe
	s_delay_alu instid0(SALU_CYCLE_1) | instskip(SKIP_1) | instid1(SALU_CYCLE_2)
	s_cvt_u32_f32 s28, s2
	s_wait_alu 0xfffe
	s_mul_u64 s[34:35], s[30:31], s[28:29]
	s_wait_alu 0xfffe
	s_mul_hi_u32 s37, s28, s35
	s_mul_i32 s36, s28, s35
	s_mul_hi_u32 s2, s28, s34
	s_mul_i32 s33, s29, s34
	s_wait_alu 0xfffe
	s_add_nc_u64 s[36:37], s[2:3], s[36:37]
	s_mul_hi_u32 s27, s29, s34
	s_mul_hi_u32 s38, s29, s35
	s_add_co_u32 s2, s36, s33
	s_wait_alu 0xfffe
	s_add_co_ci_u32 s2, s37, s27
	s_mul_i32 s34, s29, s35
	s_add_co_ci_u32 s35, s38, 0
	s_wait_alu 0xfffe
	s_add_nc_u64 s[34:35], s[2:3], s[34:35]
	s_wait_alu 0xfffe
	v_add_co_u32 v4, s2, s28, s34
	s_delay_alu instid0(VALU_DEP_1) | instskip(SKIP_1) | instid1(VALU_DEP_1)
	s_cmp_lg_u32 s2, 0
	s_add_co_ci_u32 s29, s29, s35
	v_readfirstlane_b32 s28, v4
	s_wait_alu 0xfffe
	s_delay_alu instid0(VALU_DEP_1)
	s_mul_u64 s[30:31], s[30:31], s[28:29]
	s_wait_alu 0xfffe
	s_mul_hi_u32 s35, s28, s31
	s_mul_i32 s34, s28, s31
	s_mul_hi_u32 s2, s28, s30
	s_mul_i32 s33, s29, s30
	s_wait_alu 0xfffe
	s_add_nc_u64 s[34:35], s[2:3], s[34:35]
	s_mul_hi_u32 s27, s29, s30
	s_mul_hi_u32 s28, s29, s31
	s_wait_alu 0xfffe
	s_add_co_u32 s2, s34, s33
	s_add_co_ci_u32 s2, s35, s27
	s_mul_i32 s30, s29, s31
	s_add_co_ci_u32 s31, s28, 0
	s_wait_alu 0xfffe
	s_add_nc_u64 s[30:31], s[2:3], s[30:31]
	s_wait_alu 0xfffe
	v_add_co_u32 v10, s2, v4, s30
	s_delay_alu instid0(VALU_DEP_1) | instskip(SKIP_1) | instid1(VALU_DEP_1)
	s_cmp_lg_u32 s2, 0
	s_add_co_ci_u32 s2, s29, s31
	v_mul_hi_u32 v14, v8, v10
	s_wait_alu 0xfffe
	v_mad_co_u64_u32 v[4:5], null, v8, s2, 0
	v_mad_co_u64_u32 v[10:11], null, v9, v10, 0
	;; [unrolled: 1-line block ×3, first 2 shown]
	s_delay_alu instid0(VALU_DEP_3) | instskip(SKIP_1) | instid1(VALU_DEP_4)
	v_add_co_u32 v4, vcc_lo, v14, v4
	s_wait_alu 0xfffd
	v_add_co_ci_u32_e32 v5, vcc_lo, 0, v5, vcc_lo
	s_delay_alu instid0(VALU_DEP_2) | instskip(SKIP_1) | instid1(VALU_DEP_2)
	v_add_co_u32 v4, vcc_lo, v4, v10
	s_wait_alu 0xfffd
	v_add_co_ci_u32_e32 v4, vcc_lo, v5, v11, vcc_lo
	s_wait_alu 0xfffd
	v_add_co_ci_u32_e32 v5, vcc_lo, 0, v13, vcc_lo
	s_delay_alu instid0(VALU_DEP_2) | instskip(SKIP_1) | instid1(VALU_DEP_2)
	v_add_co_u32 v10, vcc_lo, v4, v12
	s_wait_alu 0xfffd
	v_add_co_ci_u32_e32 v11, vcc_lo, 0, v5, vcc_lo
	s_delay_alu instid0(VALU_DEP_2) | instskip(SKIP_1) | instid1(VALU_DEP_3)
	v_mul_lo_u32 v12, s25, v10
	v_mad_co_u64_u32 v[4:5], null, s24, v10, 0
	v_mul_lo_u32 v13, s24, v11
	s_delay_alu instid0(VALU_DEP_2) | instskip(NEXT) | instid1(VALU_DEP_2)
	v_sub_co_u32 v4, vcc_lo, v8, v4
	v_add3_u32 v5, v5, v13, v12
	s_delay_alu instid0(VALU_DEP_1) | instskip(SKIP_1) | instid1(VALU_DEP_1)
	v_sub_nc_u32_e32 v12, v9, v5
	s_wait_alu 0xfffd
	v_subrev_co_ci_u32_e64 v12, s2, s25, v12, vcc_lo
	v_add_co_u32 v13, s2, v10, 2
	s_wait_alu 0xf1ff
	v_add_co_ci_u32_e64 v14, s2, 0, v11, s2
	v_sub_co_u32 v15, s2, v4, s24
	v_sub_co_ci_u32_e32 v5, vcc_lo, v9, v5, vcc_lo
	s_wait_alu 0xf1ff
	v_subrev_co_ci_u32_e64 v12, s2, 0, v12, s2
	s_delay_alu instid0(VALU_DEP_3) | instskip(NEXT) | instid1(VALU_DEP_3)
	v_cmp_le_u32_e32 vcc_lo, s24, v15
	v_cmp_eq_u32_e64 s2, s25, v5
	s_wait_alu 0xfffd
	v_cndmask_b32_e64 v15, 0, -1, vcc_lo
	v_cmp_le_u32_e32 vcc_lo, s25, v12
	s_wait_alu 0xfffd
	v_cndmask_b32_e64 v16, 0, -1, vcc_lo
	v_cmp_le_u32_e32 vcc_lo, s24, v4
	;; [unrolled: 3-line block ×3, first 2 shown]
	s_wait_alu 0xfffd
	v_cndmask_b32_e64 v17, 0, -1, vcc_lo
	v_cmp_eq_u32_e32 vcc_lo, s25, v12
	s_wait_alu 0xf1ff
	s_delay_alu instid0(VALU_DEP_2)
	v_cndmask_b32_e64 v4, v17, v4, s2
	s_wait_alu 0xfffd
	v_cndmask_b32_e32 v12, v16, v15, vcc_lo
	v_add_co_u32 v15, vcc_lo, v10, 1
	s_wait_alu 0xfffd
	v_add_co_ci_u32_e32 v16, vcc_lo, 0, v11, vcc_lo
	s_delay_alu instid0(VALU_DEP_3) | instskip(SKIP_1) | instid1(VALU_DEP_2)
	v_cmp_ne_u32_e32 vcc_lo, 0, v12
	s_wait_alu 0xfffd
	v_dual_cndmask_b32 v5, v16, v14 :: v_dual_cndmask_b32 v12, v15, v13
	v_cmp_ne_u32_e32 vcc_lo, 0, v4
	s_wait_alu 0xfffd
	s_delay_alu instid0(VALU_DEP_2)
	v_dual_cndmask_b32 v5, v11, v5 :: v_dual_cndmask_b32 v4, v10, v12
.LBB0_4:                                ;   in Loop: Header=BB0_2 Depth=1
	s_wait_alu 0xfffe
	s_and_not1_saveexec_b32 s2, s26
	s_cbranch_execz .LBB0_6
; %bb.5:                                ;   in Loop: Header=BB0_2 Depth=1
	v_cvt_f32_u32_e32 v4, s24
	s_sub_co_i32 s26, 0, s24
	s_delay_alu instid0(VALU_DEP_1) | instskip(NEXT) | instid1(TRANS32_DEP_1)
	v_rcp_iflag_f32_e32 v4, v4
	v_mul_f32_e32 v4, 0x4f7ffffe, v4
	s_delay_alu instid0(VALU_DEP_1) | instskip(SKIP_1) | instid1(VALU_DEP_1)
	v_cvt_u32_f32_e32 v4, v4
	s_wait_alu 0xfffe
	v_mul_lo_u32 v5, s26, v4
	s_delay_alu instid0(VALU_DEP_1) | instskip(NEXT) | instid1(VALU_DEP_1)
	v_mul_hi_u32 v5, v4, v5
	v_add_nc_u32_e32 v4, v4, v5
	s_delay_alu instid0(VALU_DEP_1) | instskip(NEXT) | instid1(VALU_DEP_1)
	v_mul_hi_u32 v4, v8, v4
	v_mul_lo_u32 v5, v4, s24
	v_add_nc_u32_e32 v10, 1, v4
	s_delay_alu instid0(VALU_DEP_2) | instskip(NEXT) | instid1(VALU_DEP_1)
	v_sub_nc_u32_e32 v5, v8, v5
	v_subrev_nc_u32_e32 v11, s24, v5
	v_cmp_le_u32_e32 vcc_lo, s24, v5
	s_wait_alu 0xfffd
	s_delay_alu instid0(VALU_DEP_2) | instskip(NEXT) | instid1(VALU_DEP_1)
	v_dual_cndmask_b32 v5, v5, v11 :: v_dual_cndmask_b32 v4, v4, v10
	v_cmp_le_u32_e32 vcc_lo, s24, v5
	s_delay_alu instid0(VALU_DEP_2) | instskip(SKIP_1) | instid1(VALU_DEP_1)
	v_dual_mov_b32 v5, v3 :: v_dual_add_nc_u32 v10, 1, v4
	s_wait_alu 0xfffd
	v_cndmask_b32_e32 v4, v4, v10, vcc_lo
.LBB0_6:                                ;   in Loop: Header=BB0_2 Depth=1
	s_wait_alu 0xfffe
	s_or_b32 exec_lo, exec_lo, s2
	v_mul_lo_u32 v12, v5, s24
	s_delay_alu instid0(VALU_DEP_2)
	v_mul_lo_u32 v13, v4, s25
	s_load_b64 s[26:27], s[18:19], 0x0
	v_mad_co_u64_u32 v[10:11], null, v4, s24, 0
	s_load_b64 s[24:25], s[16:17], 0x0
	s_add_nc_u64 s[20:21], s[20:21], 1
	s_add_nc_u64 s[16:17], s[16:17], 8
	s_wait_alu 0xfffe
	v_cmp_ge_u64_e64 s2, s[20:21], s[10:11]
	s_add_nc_u64 s[18:19], s[18:19], 8
	s_add_nc_u64 s[22:23], s[22:23], 8
	v_add3_u32 v11, v11, v13, v12
	v_sub_co_u32 v8, vcc_lo, v8, v10
	s_wait_alu 0xfffd
	s_delay_alu instid0(VALU_DEP_2) | instskip(SKIP_2) | instid1(VALU_DEP_1)
	v_sub_co_ci_u32_e32 v9, vcc_lo, v9, v11, vcc_lo
	s_and_b32 vcc_lo, exec_lo, s2
	s_wait_kmcnt 0x0
	v_mul_lo_u32 v10, s26, v9
	v_mul_lo_u32 v11, s27, v8
	v_mad_co_u64_u32 v[6:7], null, s26, v8, v[6:7]
	v_mul_lo_u32 v9, s24, v9
	v_mul_lo_u32 v12, s25, v8
	v_mad_co_u64_u32 v[1:2], null, s24, v8, v[1:2]
	s_delay_alu instid0(VALU_DEP_4) | instskip(NEXT) | instid1(VALU_DEP_2)
	v_add3_u32 v7, v11, v7, v10
	v_add3_u32 v2, v12, v2, v9
	s_wait_alu 0xfffe
	s_cbranch_vccnz .LBB0_9
; %bb.7:                                ;   in Loop: Header=BB0_2 Depth=1
	v_dual_mov_b32 v9, v5 :: v_dual_mov_b32 v8, v4
	s_branch .LBB0_2
.LBB0_8:
	v_dual_mov_b32 v1, v6 :: v_dual_mov_b32 v2, v7
	v_dual_mov_b32 v4, v8 :: v_dual_mov_b32 v5, v9
.LBB0_9:
	s_load_b64 s[0:1], s[0:1], 0x28
	v_mul_hi_u32 v17, 0x1681682, v0
	s_lshl_b64 s[10:11], s[10:11], 3
                                        ; implicit-def: $vgpr8
	s_wait_alu 0xfffe
	s_add_nc_u64 s[2:3], s[14:15], s[10:11]
                                        ; implicit-def: $sgpr14
                                        ; implicit-def: $sgpr15
	s_wait_kmcnt 0x0
	v_cmp_gt_u64_e32 vcc_lo, s[0:1], v[4:5]
	v_cmp_le_u64_e64 s0, s[0:1], v[4:5]
	s_delay_alu instid0(VALU_DEP_1)
	s_and_saveexec_b32 s1, s0
	s_wait_alu 0xfffe
	s_xor_b32 s0, exec_lo, s1
; %bb.10:
	v_mul_u32_u24_e32 v3, 0xb6, v17
	s_mov_b32 s15, 0
	s_mov_b32 s14, 0
                                        ; implicit-def: $vgpr17
                                        ; implicit-def: $vgpr6_vgpr7
	s_delay_alu instid0(VALU_DEP_1)
	v_sub_nc_u32_e32 v8, v0, v3
                                        ; implicit-def: $vgpr0
; %bb.11:
	s_wait_alu 0xfffe
	s_or_saveexec_b32 s1, s0
	s_load_b64 s[2:3], s[2:3], 0x0
	v_dual_mov_b32 v12, s15 :: v_dual_mov_b32 v3, s14
	v_mov_b32_e32 v20, s15
                                        ; implicit-def: $vgpr9
                                        ; implicit-def: $vgpr13
                                        ; implicit-def: $vgpr25
                                        ; implicit-def: $vgpr14
                                        ; implicit-def: $vgpr23
                                        ; implicit-def: $vgpr15
                                        ; implicit-def: $vgpr26
                                        ; implicit-def: $vgpr10
                                        ; implicit-def: $vgpr24
                                        ; implicit-def: $vgpr18
                                        ; implicit-def: $vgpr28
                                        ; implicit-def: $vgpr11
                                        ; implicit-def: $vgpr27
                                        ; implicit-def: $vgpr21
                                        ; implicit-def: $vgpr30
                                        ; implicit-def: $vgpr16
                                        ; implicit-def: $vgpr29
                                        ; implicit-def: $vgpr32
                                        ; implicit-def: $vgpr31
                                        ; implicit-def: $vgpr19
                                        ; implicit-def: $vgpr22
                                        ; implicit-def: $vgpr33
	s_xor_b32 exec_lo, exec_lo, s1
	s_cbranch_execz .LBB0_15
; %bb.12:
	s_add_nc_u64 s[10:11], s[12:13], s[10:11]
	v_lshlrev_b64_e32 v[6:7], 2, v[6:7]
	s_load_b64 s[10:11], s[10:11], 0x0
	v_mov_b32_e32 v12, 0
                                        ; implicit-def: $vgpr33
                                        ; implicit-def: $vgpr22
	v_mov_b32_e32 v20, 0
	s_wait_kmcnt 0x0
	v_mul_lo_u32 v3, s11, v4
	v_mul_lo_u32 v10, s10, v5
	v_mad_co_u64_u32 v[8:9], null, s10, v4, 0
	s_delay_alu instid0(VALU_DEP_1) | instskip(SKIP_1) | instid1(VALU_DEP_2)
	v_add3_u32 v9, v9, v10, v3
	v_mul_u32_u24_e32 v3, 0xb6, v17
	v_lshlrev_b64_e32 v[9:10], 2, v[8:9]
	s_delay_alu instid0(VALU_DEP_2) | instskip(NEXT) | instid1(VALU_DEP_2)
	v_sub_nc_u32_e32 v8, v0, v3
	v_add_co_u32 v0, s0, s4, v9
	s_wait_alu 0xf1ff
	s_delay_alu instid0(VALU_DEP_3) | instskip(NEXT) | instid1(VALU_DEP_3)
	v_add_co_ci_u32_e64 v3, s0, s5, v10, s0
	v_lshlrev_b32_e32 v9, 2, v8
	s_delay_alu instid0(VALU_DEP_3) | instskip(SKIP_1) | instid1(VALU_DEP_3)
	v_add_co_u32 v0, s0, v0, v6
	s_wait_alu 0xf1ff
	v_add_co_ci_u32_e64 v3, s0, v3, v7, s0
	s_mov_b32 s4, exec_lo
	s_delay_alu instid0(VALU_DEP_2) | instskip(SKIP_1) | instid1(VALU_DEP_2)
	v_add_co_u32 v6, s0, v0, v9
	s_wait_alu 0xf1ff
	v_add_co_ci_u32_e64 v7, s0, 0, v3, s0
	s_clause 0x9
	global_load_b32 v10, v[6:7], off offset:4732
	global_load_b32 v11, v[6:7], off offset:5460
	global_load_b32 v13, v[6:7], off
	global_load_b32 v15, v[6:7], off offset:728
	global_load_b32 v18, v[6:7], off offset:1456
	global_load_b32 v21, v[6:7], off offset:2184
	global_load_b32 v14, v[6:7], off offset:4004
	global_load_b32 v32, v[6:7], off offset:2912
	global_load_b32 v16, v[6:7], off offset:6188
	global_load_b32 v19, v[6:7], off offset:6916
	v_cmpx_gt_u32_e32 0x5b, v8
	s_cbranch_execz .LBB0_14
; %bb.13:
	s_clause 0x1
	global_load_b32 v20, v[6:7], off offset:3640
	global_load_b32 v33, v[6:7], off offset:7644
	s_wait_loadcnt 0x1
	v_lshrrev_b32_e32 v12, 16, v20
	s_wait_loadcnt 0x0
	v_lshrrev_b32_e32 v22, 16, v33
.LBB0_14:
	s_wait_alu 0xfffe
	s_or_b32 exec_lo, exec_lo, s4
	s_wait_loadcnt 0x7
	v_lshrrev_b32_e32 v9, 16, v13
	s_wait_loadcnt 0x3
	v_lshrrev_b32_e32 v25, 16, v14
	v_lshrrev_b32_e32 v23, 16, v15
	;; [unrolled: 1-line block ×6, first 2 shown]
	s_wait_loadcnt 0x1
	v_lshrrev_b32_e32 v30, 16, v16
	v_lshrrev_b32_e32 v29, 16, v32
	s_wait_loadcnt 0x0
	v_lshrrev_b32_e32 v31, 16, v19
	v_mov_b32_e32 v3, v8
.LBB0_15:
	s_or_b32 exec_lo, exec_lo, s1
	v_sub_f16_e32 v7, v13, v14
	v_sub_f16_e32 v10, v15, v10
	;; [unrolled: 1-line block ×5, first 2 shown]
	v_fma_f16 v13, v13, 2.0, -v7
	v_fma_f16 v17, v15, 2.0, -v10
	v_sub_f16_e32 v15, v20, v33
	v_add_nc_u32_e32 v6, 0xb6, v8
	v_add_nc_u32_e32 v33, 0x38e, v8
	v_fma_f16 v19, v18, 2.0, -v11
	v_fma_f16 v18, v21, 2.0, -v14
	v_lshl_add_u32 v0, v8, 2, 0
	v_fma_f16 v21, v32, 2.0, -v16
	v_fma_f16 v20, v20, 2.0, -v15
	v_pack_b32_f16 v34, v13, v7
	v_lshl_add_u32 v32, v6, 2, 0
	v_cmp_gt_u32_e64 s0, 0x5b, v8
	v_lshl_add_u32 v33, v33, 2, 0
	v_pack_b32_f16 v36, v19, v11
	v_pack_b32_f16 v37, v18, v14
	v_add_nc_u32_e32 v38, 0x500, v0
	v_pack_b32_f16 v35, v17, v10
	v_pack_b32_f16 v39, v21, v16
	ds_store_b32 v0, v34
	ds_store_2addr_b32 v38, v36, v37 offset0:44 offset1:226
	ds_store_b32 v32, v35
	ds_store_b32 v0, v39 offset:2912
	s_and_saveexec_b32 s1, s0
	s_cbranch_execz .LBB0_17
; %bb.16:
	v_perm_b32 v34, v15, v20, 0x5040100
	ds_store_b32 v33, v34
.LBB0_17:
	s_wait_alu 0xfffe
	s_or_b32 exec_lo, exec_lo, s1
	v_add_nc_u32_e32 v39, 0x5b0, v0
	v_add_nc_u32_e32 v41, 0x888, v0
	;; [unrolled: 1-line block ×3, first 2 shown]
	v_cmp_gt_u32_e64 s1, 0x9a, v8
	global_wb scope:SCOPE_SE
	s_wait_dscnt 0x0
	s_wait_kmcnt 0x0
	s_barrier_signal -1
	s_barrier_wait -1
	global_inv scope:SCOPE_SE
                                        ; implicit-def: $vgpr34
	s_and_saveexec_b32 s4, s1
	s_cbranch_execz .LBB0_19
; %bb.18:
	v_lshlrev_b32_e32 v7, 1, v8
	s_delay_alu instid0(VALU_DEP_1)
	v_sub_nc_u32_e32 v34, v0, v7
	ds_load_u16 v13, v34
	ds_load_u16 v7, v34 offset:308
	ds_load_u16 v17, v34 offset:616
	;; [unrolled: 1-line block ×12, first 2 shown]
.LBB0_19:
	s_wait_alu 0xfffe
	s_or_b32 exec_lo, exec_lo, s4
	v_sub_f16_e32 v37, v9, v25
	v_sub_f16_e32 v36, v23, v26
	;; [unrolled: 1-line block ×5, first 2 shown]
	v_fma_f16 v9, v9, 2.0, -v37
	v_sub_f16_e32 v47, v12, v22
	v_fma_f16 v38, v23, 2.0, -v36
	v_fma_f16 v46, v24, 2.0, -v35
	;; [unrolled: 1-line block ×5, first 2 shown]
	v_pack_b32_f16 v12, v9, v37
	v_pack_b32_f16 v22, v38, v36
	;; [unrolled: 1-line block ×5, first 2 shown]
	global_wb scope:SCOPE_SE
	s_wait_dscnt 0x0
	s_barrier_signal -1
	s_barrier_wait -1
	global_inv scope:SCOPE_SE
	ds_store_b32 v0, v12
	ds_store_b32 v32, v22
	;; [unrolled: 1-line block ×5, first 2 shown]
	s_and_saveexec_b32 s4, s0
	s_cbranch_execz .LBB0_21
; %bb.20:
	v_perm_b32 v0, v47, v48, 0x5040100
	ds_store_b32 v33, v0
.LBB0_21:
	s_wait_alu 0xfffe
	s_or_b32 exec_lo, exec_lo, s4
	v_lshl_add_u32 v0, v8, 1, 0
	global_wb scope:SCOPE_SE
	s_wait_dscnt 0x0
	s_barrier_signal -1
	s_barrier_wait -1
	global_inv scope:SCOPE_SE
                                        ; implicit-def: $vgpr49
	s_and_saveexec_b32 s0, s1
	s_cbranch_execz .LBB0_23
; %bb.22:
	ds_load_u16 v9, v0
	ds_load_u16 v37, v0 offset:308
	ds_load_u16 v38, v0 offset:616
	;; [unrolled: 1-line block ×12, first 2 shown]
.LBB0_23:
	s_wait_alu 0xfffe
	s_or_b32 exec_lo, exec_lo, s0
	v_and_b32_e32 v12, 1, v8
	s_delay_alu instid0(VALU_DEP_1) | instskip(NEXT) | instid1(VALU_DEP_1)
	v_mul_u32_u24_e32 v22, 12, v12
	v_lshlrev_b32_e32 v22, 2, v22
	s_clause 0x2
	global_load_b128 v[50:53], v22, s[8:9]
	global_load_b128 v[54:57], v22, s[8:9] offset:16
	global_load_b128 v[58:61], v22, s[8:9] offset:32
	global_wb scope:SCOPE_SE
	s_wait_loadcnt_dscnt 0x0
	s_barrier_signal -1
	s_barrier_wait -1
	global_inv scope:SCOPE_SE
	v_lshrrev_b32_e32 v22, 16, v50
	v_lshrrev_b32_e32 v25, 16, v53
	;; [unrolled: 1-line block ×7, first 2 shown]
	v_mul_f16_e32 v33, v7, v22
	v_mul_f16_e32 v68, v46, v25
	;; [unrolled: 1-line block ×4, first 2 shown]
	v_lshrrev_b32_e32 v26, 16, v54
	v_lshrrev_b32_e32 v27, 16, v55
	;; [unrolled: 1-line block ×5, first 2 shown]
	v_mul_f16_e32 v65, v37, v22
	v_mul_f16_e32 v66, v38, v23
	v_mul_f16_e32 v32, v17, v23
	v_mul_f16_e32 v67, v36, v24
	v_mul_f16_e32 v31, v10, v24
	v_mul_f16_e32 v74, v48, v62
	v_mul_f16_e32 v23, v20, v62
	v_mul_f16_e32 v62, v47, v63
	v_mul_f16_e32 v24, v15, v63
	v_mul_f16_e32 v63, v49, v64
	v_fmac_f16_e32 v33, v37, v50
	v_fmac_f16_e32 v25, v49, v61
	v_mul_f16_e32 v69, v35, v26
	v_mul_f16_e32 v29, v11, v26
	;; [unrolled: 1-line block ×9, first 2 shown]
	v_fma_f16 v42, v7, v50, -v65
	v_fmac_f16_e32 v32, v38, v51
	v_fmac_f16_e32 v30, v46, v53
	v_fma_f16 v46, v34, v61, -v63
	v_fmac_f16_e32 v24, v47, v60
	v_sub_f16_e32 v7, v33, v25
	v_mul_f16_e32 v71, v40, v39
	v_fma_f16 v41, v17, v51, -v66
	v_fma_f16 v38, v10, v52, -v67
	v_fmac_f16_e32 v31, v36, v52
	v_fma_f16 v39, v19, v53, -v68
	v_fmac_f16_e32 v28, v45, v55
	v_fmac_f16_e32 v27, v40, v56
	v_fma_f16 v40, v21, v57, -v72
	v_fmac_f16_e32 v26, v43, v57
	v_fma_f16 v45, v15, v60, -v62
	v_fmac_f16_e32 v23, v48, v59
	v_add_f16_e32 v51, v42, v46
	v_sub_f16_e32 v10, v32, v24
	v_pk_mul_f16 v19, 0xb770ba95, v7 op_sel_hi:[1,0]
	v_pk_mul_f16 v50, 0xbbf1bb7b, v7 op_sel_hi:[1,0]
	;; [unrolled: 1-line block ×3, first 2 shown]
	v_fma_f16 v37, v11, v54, -v69
	v_fmac_f16_e32 v29, v35, v54
	v_fma_f16 v35, v18, v55, -v70
	v_fmac_f16_e32 v22, v44, v58
	v_fma_f16 v44, v20, v59, -v74
	v_add_f16_e32 v52, v41, v45
	v_sub_f16_e32 v11, v31, v23
	v_pk_mul_f16 v18, 0xba95bb7b, v10 op_sel_hi:[1,0]
	v_pk_mul_f16 v49, 0xb3a8394e, v10 op_sel_hi:[1,0]
	;; [unrolled: 1-line block ×3, first 2 shown]
	v_pk_fma_f16 v7, 0x3b15388b, v51, v19 op_sel_hi:[1,0,1]
	v_pk_fma_f16 v65, 0x2fb7b5ac, v51, v50 op_sel_hi:[1,0,1]
	;; [unrolled: 1-line block ×3, first 2 shown]
	v_fma_f16 v43, v16, v58, -v73
	v_add_f16_e32 v53, v38, v44
	v_sub_f16_e32 v34, v30, v22
	v_pk_mul_f16 v17, 0xbbf1b3a8, v11 op_sel_hi:[1,0]
	v_pk_mul_f16 v48, 0x3b7b3770, v11 op_sel_hi:[1,0]
	;; [unrolled: 1-line block ×3, first 2 shown]
	v_pk_fma_f16 v10, 0x388bb5ac, v52, v18 op_sel_hi:[1,0,1]
	v_pk_fma_f16 v67, 0xbbc4b9fd, v52, v49 op_sel_hi:[1,0,1]
	;; [unrolled: 1-line block ×3, first 2 shown]
	v_pk_add_f16 v7, v13, v7 op_sel_hi:[0,1]
	v_pk_add_f16 v65, v13, v65 op_sel_hi:[0,1]
	;; [unrolled: 1-line block ×3, first 2 shown]
	v_add_f16_e32 v54, v39, v43
	v_sub_f16_e32 v58, v29, v26
	v_pk_mul_f16 v16, 0xbb7b394e, v34 op_sel_hi:[1,0]
	v_pk_mul_f16 v47, 0x3770bbf1, v34 op_sel_hi:[1,0]
	v_pk_mul_f16 v61, 0x33a83a95, v34 op_sel_hi:[1,0]
	v_pk_fma_f16 v11, 0x2fb7bbc4, v53, v17 op_sel_hi:[1,0,1]
	v_pk_fma_f16 v69, 0xb5ac3b15, v53, v48 op_sel_hi:[1,0,1]
	;; [unrolled: 1-line block ×3, first 2 shown]
	v_pk_add_f16 v7, v10, v7
	v_pk_add_f16 v10, v67, v65
	;; [unrolled: 1-line block ×3, first 2 shown]
	v_fma_f16 v36, v14, v56, -v71
	v_add_f16_e32 v55, v37, v40
	v_sub_f16_e32 v63, v28, v27
	v_pk_mul_f16 v15, 0xb94e3bf1, v58 op_sel_hi:[1,0]
	v_pk_mul_f16 v21, 0xba9533a8, v58 op_sel_hi:[1,0]
	;; [unrolled: 1-line block ×3, first 2 shown]
	v_pk_fma_f16 v34, 0xb5acb9fd, v54, v16 op_sel_hi:[1,0,1]
	v_pk_fma_f16 v66, 0x3b152fb7, v54, v47 op_sel_hi:[1,0,1]
	;; [unrolled: 1-line block ×3, first 2 shown]
	v_pk_add_f16 v7, v11, v7
	v_pk_add_f16 v10, v69, v10
	;; [unrolled: 1-line block ×3, first 2 shown]
	v_add_f16_e32 v56, v35, v36
	v_pk_mul_f16 v14, 0xb3a83770, v63 op_sel_hi:[1,0]
	v_pk_mul_f16 v20, 0xb94e3a95, v63 op_sel_hi:[1,0]
	;; [unrolled: 1-line block ×3, first 2 shown]
	v_pk_fma_f16 v63, 0xb9fd2fb7, v55, v15 op_sel_hi:[1,0,1]
	v_pk_fma_f16 v65, 0x388bbbc4, v55, v21 op_sel_hi:[1,0,1]
	;; [unrolled: 1-line block ×3, first 2 shown]
	v_pk_add_f16 v7, v34, v7
	v_pk_add_f16 v10, v66, v10
	v_pk_add_f16 v11, v67, v11
	v_pk_fma_f16 v64, 0xbbc43b15, v56, v14 op_sel_hi:[1,0,1]
	v_pk_fma_f16 v34, 0xb9fd388b, v56, v20 op_sel_hi:[1,0,1]
	;; [unrolled: 1-line block ×3, first 2 shown]
	v_pk_add_f16 v7, v63, v7
	v_pk_add_f16 v63, v65, v10
	;; [unrolled: 1-line block ×3, first 2 shown]
	s_delay_alu instid0(VALU_DEP_3) | instskip(NEXT) | instid1(VALU_DEP_3)
	v_pk_add_f16 v10, v64, v7
	v_pk_add_f16 v11, v34, v63
	s_delay_alu instid0(VALU_DEP_3)
	v_pk_add_f16 v7, v66, v65
	v_lshrrev_b32_e32 v34, 1, v8
	s_and_saveexec_b32 s0, s1
	s_cbranch_execz .LBB0_25
; %bb.24:
	v_add_f16_e32 v63, v13, v42
	v_pk_mul_f16 v64, 0x3b15388b, v51 op_sel_hi:[1,0]
	v_pk_mul_f16 v70, 0x2fb7b5ac, v51 op_sel_hi:[1,0]
	;; [unrolled: 1-line block ×4, first 2 shown]
	v_add_f16_e32 v63, v63, v41
	v_pk_mul_f16 v71, 0xbbc4b9fd, v52 op_sel_hi:[1,0]
	v_pk_mul_f16 v52, 0x2fb73b15, v52 op_sel_hi:[1,0]
	v_pk_add_f16 v51, v51, v57 neg_lo:[0,1] neg_hi:[0,1]
	v_pk_mul_f16 v66, 0x2fb7bbc4, v53 op_sel_hi:[1,0]
	v_add_f16_e32 v63, v63, v38
	v_pk_mul_f16 v69, 0xbbc43b15, v56 op_sel_hi:[1,0]
	v_pk_mul_f16 v72, 0xb5ac3b15, v53 op_sel_hi:[1,0]
	;; [unrolled: 1-line block ×4, first 2 shown]
	v_add_f16_e32 v63, v63, v39
	v_pk_mul_f16 v56, 0xb5ac2fb7, v56 op_sel_hi:[1,0]
	v_pk_add_f16 v52, v52, v59 neg_lo:[0,1] neg_hi:[0,1]
	v_lshrrev_b32_e32 v59, 16, v51
	v_pk_mul_f16 v67, 0xb5acb9fd, v54 op_sel_hi:[1,0]
	v_add_f16_e32 v63, v63, v37
	v_pk_mul_f16 v73, 0x3b152fb7, v54 op_sel_hi:[1,0]
	v_pk_mul_f16 v54, 0xbbc4388b, v54 op_sel_hi:[1,0]
	v_pk_add_f16 v53, v53, v60 neg_lo:[0,1] neg_hi:[0,1]
	v_pk_add_f16 v56, v56, v58 neg_lo:[0,1] neg_hi:[0,1]
	v_add_f16_e32 v57, v63, v35
	v_add_f16_e32 v51, v13, v51
	v_lshrrev_b32_e32 v58, 16, v52
	v_add_f16_e32 v59, v13, v59
	v_pk_mul_f16 v68, 0xb9fd2fb7, v55 op_sel_hi:[1,0]
	v_add_f16_e32 v57, v57, v36
	v_pk_mul_f16 v74, 0x388bbbc4, v55 op_sel_hi:[1,0]
	v_pk_mul_f16 v55, 0x3b15b5ac, v55 op_sel_hi:[1,0]
	v_pk_add_f16 v54, v54, v61 neg_lo:[0,1] neg_hi:[0,1]
	v_lshrrev_b32_e32 v60, 16, v53
	v_add_f16_e32 v57, v57, v40
	v_add_f16_e32 v51, v52, v51
	;; [unrolled: 1-line block ×3, first 2 shown]
	v_pk_add_f16 v55, v55, v62 neg_lo:[0,1] neg_hi:[0,1]
	v_lshrrev_b32_e32 v58, 16, v54
	v_add_f16_e32 v57, v57, v43
	v_add_f16_e32 v51, v53, v51
	;; [unrolled: 1-line block ×3, first 2 shown]
	v_pk_add_f16 v50, v70, v50 neg_lo:[0,1] neg_hi:[0,1]
	v_pk_add_f16 v19, v64, v19 neg_lo:[0,1] neg_hi:[0,1]
	v_add_f16_e32 v53, v57, v44
	v_lshrrev_b32_e32 v57, 16, v55
	v_add_f16_e32 v51, v54, v51
	v_add_f16_e32 v52, v58, v52
	v_pk_add_f16 v49, v71, v49 neg_lo:[0,1] neg_hi:[0,1]
	v_add_f16_e32 v59, v13, v50
	v_lshrrev_b32_e32 v50, 16, v50
	v_add_f16_e32 v51, v55, v51
	v_add_f16_e32 v52, v57, v52
	v_lshrrev_b32_e32 v55, 16, v56
	v_pk_add_f16 v18, v65, v18 neg_lo:[0,1] neg_hi:[0,1]
	v_add_f16_e32 v54, v49, v59
	v_add_f16_e32 v51, v56, v51
	;; [unrolled: 1-line block ×4, first 2 shown]
	v_lshrrev_b32_e32 v55, 16, v19
	v_lshrrev_b32_e32 v49, 16, v49
	;; [unrolled: 1-line block ×3, first 2 shown]
	v_pk_add_f16 v17, v66, v17 neg_lo:[0,1] neg_hi:[0,1]
	v_pk_add_f16 v48, v72, v48 neg_lo:[0,1] neg_hi:[0,1]
	v_add_f16_e32 v55, v13, v55
	v_add_f16_e32 v13, v13, v19
	;; [unrolled: 1-line block ×3, first 2 shown]
	v_lshrrev_b32_e32 v50, 16, v17
	v_pk_add_f16 v16, v67, v16 neg_lo:[0,1] neg_hi:[0,1]
	v_add_f16_e32 v19, v56, v55
	v_add_f16_e32 v13, v18, v13
	;; [unrolled: 1-line block ×3, first 2 shown]
	v_pk_add_f16 v47, v73, v47 neg_lo:[0,1] neg_hi:[0,1]
	v_lshrrev_b32_e32 v48, 16, v48
	v_add_f16_e32 v18, v50, v19
	v_lshrrev_b32_e32 v19, 16, v16
	v_pk_add_f16 v15, v68, v15 neg_lo:[0,1] neg_hi:[0,1]
	v_add_f16_e32 v13, v17, v13
	v_add_f16_e32 v54, v47, v54
	v_pk_add_f16 v21, v74, v21 neg_lo:[0,1] neg_hi:[0,1]
	v_add_f16_e32 v48, v48, v49
	v_lshrrev_b32_e32 v47, 16, v47
	v_add_f16_e32 v17, v19, v18
	v_lshrrev_b32_e32 v18, 16, v15
	v_mul_u32_u24_e32 v19, 26, v34
	v_pk_add_f16 v14, v69, v14 neg_lo:[0,1] neg_hi:[0,1]
	v_add_f16_e32 v13, v16, v13
	v_pk_add_f16 v20, v75, v20 neg_lo:[0,1] neg_hi:[0,1]
	v_add_f16_e32 v47, v47, v48
	v_lshrrev_b32_e32 v48, 16, v21
	v_add_f16_e32 v53, v53, v45
	v_add_f16_e32 v17, v18, v17
	v_or_b32_e32 v18, v19, v12
	v_lshrrev_b32_e32 v19, 16, v14
	v_add_f16_e32 v13, v15, v13
	v_add_f16_e32 v16, v48, v47
	v_lshrrev_b32_e32 v15, 16, v20
	v_add_f16_e32 v21, v21, v54
	v_add_f16_e32 v53, v53, v46
	v_lshl_add_u32 v18, v18, 1, 0
	v_add_f16_e32 v17, v19, v17
	v_add_f16_e32 v13, v14, v13
	;; [unrolled: 1-line block ×4, first 2 shown]
	ds_store_b16 v18, v53
	ds_store_b16 v18, v17 offset:4
	ds_store_b16 v18, v13 offset:8
	;; [unrolled: 1-line block ×7, first 2 shown]
	ds_store_b16_d16_hi v18, v7 offset:32
	ds_store_b16 v18, v11 offset:36
	ds_store_b16_d16_hi v18, v11 offset:40
	ds_store_b16 v18, v10 offset:44
	ds_store_b16_d16_hi v18, v10 offset:48
.LBB0_25:
	s_wait_alu 0xfffe
	s_or_b32 exec_lo, exec_lo, s0
	global_wb scope:SCOPE_SE
	s_wait_dscnt 0x0
	s_barrier_signal -1
	s_barrier_wait -1
	global_inv scope:SCOPE_SE
	ds_load_u16 v14, v0
	ds_load_u16 v21, v0 offset:572
	ds_load_u16 v20, v0 offset:1144
	;; [unrolled: 1-line block ×6, first 2 shown]
	v_cmp_gt_u32_e64 s0, 0x68, v8
                                        ; implicit-def: $vgpr15
	s_delay_alu instid0(VALU_DEP_1)
	s_and_saveexec_b32 s4, s0
	s_cbranch_execz .LBB0_27
; %bb.26:
	ds_load_u16 v7, v0 offset:364
	ds_load_u16 v11, v0 offset:1508
	;; [unrolled: 1-line block ×4, first 2 shown]
	s_wait_dscnt 0x3
	ds_load_u16_d16_hi v7, v0 offset:936
	s_wait_dscnt 0x3
	ds_load_u16_d16_hi v11, v0 offset:2080
	;; [unrolled: 2-line block ×3, first 2 shown]
.LBB0_27:
	s_wait_alu 0xfffe
	s_or_b32 exec_lo, exec_lo, s4
	v_sub_f16_e32 v13, v42, v46
	v_add_f16_e32 v51, v33, v25
	v_sub_f16_e32 v41, v41, v45
	v_add_f16_e32 v52, v32, v24
	v_sub_f16_e32 v38, v38, v44
	v_pk_mul_f16 v46, 0xba95bbf1, v13 op_sel_hi:[1,0]
	v_sub_f16_e32 v44, v39, v43
	v_pk_mul_f16 v48, 0xbb7bb3a8, v41 op_sel_hi:[1,0]
	v_add_f16_e32 v55, v31, v23
	v_sub_f16_e32 v37, v37, v40
	v_pk_fma_f16 v39, 0x388b2fb7, v51, v46 op_sel_hi:[1,0,1] neg_lo:[0,0,1] neg_hi:[0,0,1]
	v_pk_mul_f16 v49, 0xb3a83b7b, v38 op_sel_hi:[1,0]
	v_pk_fma_f16 v40, 0xb5acbbc4, v52, v48 op_sel_hi:[1,0,1] neg_lo:[0,0,1] neg_hi:[0,0,1]
	v_add_f16_e32 v58, v30, v22
	v_sub_f16_e32 v35, v35, v36
	v_pk_add_f16 v39, v9, v39 op_sel_hi:[0,1]
	v_pk_mul_f16 v56, 0x394e3770, v44 op_sel_hi:[1,0]
	v_pk_fma_f16 v36, 0xbbc4b5ac, v55, v49 op_sel_hi:[1,0,1] neg_lo:[0,0,1] neg_hi:[0,0,1]
	v_add_f16_e32 v59, v29, v26
	v_pk_mul_f16 v57, 0x3bf1ba95, v37 op_sel_hi:[1,0]
	v_pk_add_f16 v39, v40, v39
	v_pk_mul_f16 v50, 0xb94eb770, v13 op_sel_hi:[1,0]
	v_pk_fma_f16 v40, 0xb9fd3b15, v58, v56 op_sel_hi:[1,0,1] neg_lo:[0,0,1] neg_hi:[0,0,1]
	v_pk_mul_f16 v43, 0xbb7bb3a8, v13 op_sel_hi:[1,0]
	v_pk_mul_f16 v47, 0x3bf1ba95, v41 op_sel_hi:[1,0]
	v_pk_add_f16 v36, v36, v39
	v_pk_fma_f16 v13, 0x2fb7388b, v59, v57 op_sel_hi:[1,0,1] neg_lo:[0,0,1] neg_hi:[0,0,1]
	v_pk_fma_f16 v42, 0xb9fd3b15, v51, v50 op_sel_hi:[1,0,1] neg_lo:[0,0,1] neg_hi:[0,0,1]
	v_pk_mul_f16 v39, 0x394e3770, v41 op_sel_hi:[1,0]
	v_pk_fma_f16 v41, 0x2fb7388b, v52, v47 op_sel_hi:[1,0,1] neg_lo:[0,0,1] neg_hi:[0,0,1]
	v_pk_add_f16 v36, v40, v36
	v_pk_fma_f16 v40, 0xb5acbbc4, v51, v43 op_sel_hi:[1,0,1] neg_lo:[0,0,1] neg_hi:[0,0,1]
	v_pk_add_f16 v45, v9, v42 op_sel_hi:[0,1]
	v_pk_mul_f16 v54, 0xba95bbf1, v38 op_sel_hi:[1,0]
	v_pk_mul_f16 v42, 0x3770b94e, v38 op_sel_hi:[1,0]
	v_pk_add_f16 v13, v13, v36
	v_pk_add_f16 v36, v9, v40 op_sel_hi:[0,1]
	v_pk_fma_f16 v40, 0xb9fd3b15, v52, v39 op_sel_hi:[1,0,1] neg_lo:[0,0,1] neg_hi:[0,0,1]
	v_pk_add_f16 v38, v41, v45
	v_pk_fma_f16 v41, 0x388b2fb7, v55, v54 op_sel_hi:[1,0,1] neg_lo:[0,0,1] neg_hi:[0,0,1]
	v_pk_mul_f16 v45, 0x33a8bb7b, v44 op_sel_hi:[1,0]
	v_pk_fma_f16 v61, 0x3b15b9fd, v55, v42 op_sel_hi:[1,0,1] neg_lo:[0,0,1] neg_hi:[0,0,1]
	v_pk_add_f16 v36, v40, v36
	v_pk_mul_f16 v40, 0xbbf13a95, v44 op_sel_hi:[1,0]
	v_pk_add_f16 v41, v41, v38
	v_pk_fma_f16 v62, 0xbbc4b5ac, v58, v45 op_sel_hi:[1,0,1] neg_lo:[0,0,1] neg_hi:[0,0,1]
	v_pk_mul_f16 v44, 0x3770b94e, v37 op_sel_hi:[1,0]
	v_pk_add_f16 v36, v61, v36
	v_pk_fma_f16 v61, 0x2fb7388b, v58, v40 op_sel_hi:[1,0,1] neg_lo:[0,0,1] neg_hi:[0,0,1]
	v_pk_mul_f16 v38, 0x33a8bb7b, v37 op_sel_hi:[1,0]
	v_add_f16_e32 v60, v28, v27
	v_pk_mul_f16 v53, 0x3770b94e, v35 op_sel_hi:[1,0]
	v_pk_add_f16 v62, v62, v41
	v_pk_fma_f16 v63, 0x3b15b9fd, v59, v44 op_sel_hi:[1,0,1] neg_lo:[0,0,1] neg_hi:[0,0,1]
	v_pk_mul_f16 v41, 0xbb7bb3a8, v35 op_sel_hi:[1,0]
	v_pk_add_f16 v36, v61, v36
	v_pk_fma_f16 v61, 0xbbc4b5ac, v59, v38 op_sel_hi:[1,0,1] neg_lo:[0,0,1] neg_hi:[0,0,1]
	v_pk_mul_f16 v37, 0x3a953bf1, v35 op_sel_hi:[1,0]
	v_pk_fma_f16 v35, 0x3b15b9fd, v60, v53 op_sel_hi:[1,0,1] neg_lo:[0,0,1] neg_hi:[0,0,1]
	v_pk_add_f16 v62, v63, v62
	v_pk_fma_f16 v63, 0xb5acbbc4, v60, v41 op_sel_hi:[1,0,1] neg_lo:[0,0,1] neg_hi:[0,0,1]
	v_pk_add_f16 v61, v61, v36
	;; [unrolled: 2-line block ×3, first 2 shown]
	global_wb scope:SCOPE_SE
	s_wait_dscnt 0x0
	v_pk_add_f16 v35, v63, v62
	s_barrier_signal -1
	v_pk_add_f16 v13, v64, v61
	s_barrier_wait -1
	global_inv scope:SCOPE_SE
	s_and_saveexec_b32 s4, s1
	s_cbranch_execz .LBB0_29
; %bb.28:
	v_add_f16_e32 v33, v9, v33
	v_pk_mul_f16 v61, 0x388b2fb7, v51 op_sel_hi:[1,0]
	v_pk_mul_f16 v62, 0xb5acbbc4, v52 op_sel_hi:[1,0]
	;; [unrolled: 1-line block ×4, first 2 shown]
	v_add_f16_e32 v32, v33, v32
	v_pk_add_f16 v46, v46, v61
	v_pk_mul_f16 v65, 0x3b15b9fd, v60 op_sel_hi:[1,0]
	v_pk_add_f16 v48, v48, v62
	v_pk_mul_f16 v67, 0x2fb7388b, v52 op_sel_hi:[1,0]
	v_add_f16_e32 v31, v32, v31
	v_pk_mul_f16 v33, 0x2fb7388b, v59 op_sel_hi:[1,0]
	v_pk_mul_f16 v66, 0xb9fd3b15, v51 op_sel_hi:[1,0]
	;; [unrolled: 1-line block ×4, first 2 shown]
	v_add_f16_e32 v30, v31, v30
	v_pk_add_f16 v33, v57, v33
	v_pk_add_f16 v50, v50, v66
	v_pk_mul_f16 v31, 0xb5acbbc4, v51 op_sel_hi:[1,0]
	v_pk_add_f16 v32, v54, v32
	v_add_f16_e32 v29, v30, v29
	v_pk_mul_f16 v51, 0xb9fd3b15, v52 op_sel_hi:[1,0]
	v_pk_mul_f16 v52, 0x3b15b9fd, v55 op_sel_hi:[1,0]
	;; [unrolled: 1-line block ×4, first 2 shown]
	v_add_f16_e32 v28, v29, v28
	v_pk_add_f16 v29, v49, v63
	v_pk_add_f16 v49, v56, v64
	v_lshrrev_b32_e32 v56, 16, v46
	v_add_f16_e32 v46, v9, v46
	v_add_f16_e32 v27, v28, v27
	v_pk_add_f16 v28, v53, v65
	v_lshrrev_b32_e32 v53, 16, v48
	v_add_f16_e32 v56, v9, v56
	v_add_f16_e32 v46, v48, v46
	;; [unrolled: 1-line block ×3, first 2 shown]
	v_pk_add_f16 v27, v47, v67
	v_lshrrev_b32_e32 v47, 16, v29
	v_add_f16_e32 v53, v53, v56
	v_lshrrev_b32_e32 v56, 16, v33
	v_add_f16_e32 v22, v26, v22
	v_lshrrev_b32_e32 v26, 16, v49
	v_lshrrev_b32_e32 v48, 16, v50
	v_add_f16_e32 v47, v47, v53
	v_add_f16_e32 v29, v29, v46
	;; [unrolled: 1-line block ×3, first 2 shown]
	v_lshrrev_b32_e32 v23, 16, v28
	v_add_f16_e32 v46, v9, v48
	v_add_f16_e32 v26, v26, v47
	;; [unrolled: 1-line block ×5, first 2 shown]
	v_pk_mul_f16 v30, 0xbbc4b5ac, v59 op_sel_hi:[1,0]
	v_add_f16_e32 v26, v56, v26
	v_add_f16_e32 v29, v33, v29
	;; [unrolled: 1-line block ×3, first 2 shown]
	v_lshrrev_b32_e32 v25, 16, v27
	v_add_f16_e32 v24, v27, v24
	v_add_f16_e32 v23, v23, v26
	v_lshrrev_b32_e32 v26, 16, v32
	v_pk_add_f16 v27, v43, v31
	v_add_f16_e32 v25, v25, v46
	v_add_f16_e32 v28, v28, v29
	v_pk_add_f16 v29, v39, v51
	v_add_f16_e32 v24, v32, v24
	v_pk_add_f16 v31, v45, v68
	v_add_f16_e32 v25, v26, v25
	v_lshrrev_b32_e32 v26, 16, v27
	v_lshrrev_b32_e32 v33, 16, v29
	v_pk_add_f16 v39, v42, v52
	v_add_f16_e32 v24, v31, v24
	v_lshrrev_b32_e32 v31, 16, v31
	v_add_f16_e32 v26, v9, v26
	v_pk_add_f16 v32, v44, v69
	v_add_f16_e32 v9, v9, v27
	v_lshrrev_b32_e32 v27, 16, v39
	v_add_f16_e32 v25, v31, v25
	v_add_f16_e32 v26, v33, v26
	v_pk_add_f16 v33, v40, v55
	v_lshrrev_b32_e32 v31, 16, v32
	v_add_f16_e32 v9, v29, v9
	v_pk_mul_f16 v58, 0x388b2fb7, v60 op_sel_hi:[1,0]
	v_add_f16_e32 v26, v27, v26
	v_lshrrev_b32_e32 v27, 16, v33
	v_pk_add_f16 v29, v38, v30
	v_pk_mul_f16 v70, 0xb5acbbc4, v60 op_sel_hi:[1,0]
	v_add_f16_e32 v25, v31, v25
	v_add_f16_e32 v9, v39, v9
	v_mul_u32_u24_e32 v31, 26, v34
	v_add_f16_e32 v24, v32, v24
	v_add_f16_e32 v26, v27, v26
	v_lshrrev_b32_e32 v27, 16, v29
	v_pk_add_f16 v32, v37, v58
	v_pk_add_f16 v30, v41, v70
	v_add_f16_e32 v9, v33, v9
	v_or_b32_e32 v12, v31, v12
	v_add_f16_e32 v26, v27, v26
	v_lshrrev_b32_e32 v27, 16, v32
	v_lshrrev_b32_e32 v31, 16, v30
	v_add_f16_e32 v9, v29, v9
	v_lshl_add_u32 v12, v12, 1, 0
	v_add_f16_e32 v24, v30, v24
	v_add_f16_e32 v26, v27, v26
	;; [unrolled: 1-line block ×4, first 2 shown]
	ds_store_b16 v12, v22
	ds_store_b16 v12, v24 offset:4
	ds_store_b16 v12, v23 offset:8
	;; [unrolled: 1-line block ×7, first 2 shown]
	ds_store_b16_d16_hi v12, v35 offset:32
	ds_store_b16_d16_hi v12, v13 offset:36
	ds_store_b16 v12, v36 offset:40
	ds_store_b16_d16_hi v12, v36 offset:44
	ds_store_b16 v12, v35 offset:48
.LBB0_29:
	s_wait_alu 0xfffe
	s_or_b32 exec_lo, exec_lo, s4
	global_wb scope:SCOPE_SE
	s_wait_dscnt 0x0
	s_barrier_signal -1
	s_barrier_wait -1
	global_inv scope:SCOPE_SE
	ds_load_u16 v9, v0
	ds_load_u16 v34, v0 offset:572
	ds_load_u16 v33, v0 offset:1144
	ds_load_u16 v32, v0 offset:1716
	ds_load_u16 v30, v0 offset:2288
	ds_load_u16 v27, v0 offset:2860
	ds_load_u16 v25, v0 offset:3432
                                        ; implicit-def: $vgpr12
	s_and_saveexec_b32 s1, s0
	s_cbranch_execz .LBB0_31
; %bb.30:
	ds_load_u16 v35, v0 offset:3224
	ds_load_u16 v13, v0 offset:364
	;; [unrolled: 1-line block ×3, first 2 shown]
	s_wait_dscnt 0x2
	ds_load_u16_d16_hi v35, v0 offset:936
	ds_load_u16 v12, v0 offset:3796
	s_wait_dscnt 0x3
	ds_load_u16_d16_hi v13, v0 offset:1508
	s_wait_dscnt 0x3
	ds_load_u16_d16_hi v36, v0 offset:2652
.LBB0_31:
	s_wait_alu 0xfffe
	s_or_b32 exec_lo, exec_lo, s1
	v_and_b32_e32 v22, 0xff, v8
	v_and_b32_e32 v23, 0xffff, v6
	s_wait_dscnt 0x1
	v_lshrrev_b32_e32 v59, 16, v13
	v_lshrrev_b32_e32 v60, 16, v11
	s_wait_dscnt 0x0
	v_lshrrev_b32_e32 v61, 16, v36
	v_mul_lo_u16 v22, 0x4f, v22
	v_mul_u32_u24_e32 v23, 0x4ec5, v23
	v_lshrrev_b32_e32 v62, 16, v10
	v_lshrrev_b32_e32 v58, 16, v35
	;; [unrolled: 1-line block ×3, first 2 shown]
	v_lshrrev_b16 v22, 11, v22
	v_lshrrev_b32_e32 v23, 19, v23
	s_delay_alu instid0(VALU_DEP_2) | instskip(NEXT) | instid1(VALU_DEP_2)
	v_mul_lo_u16 v24, v22, 26
	v_mul_lo_u16 v26, v23, 26
	v_and_b32_e32 v22, 0xffff, v22
	v_mul_lo_u16 v23, 0xb6, v23
	s_delay_alu instid0(VALU_DEP_4) | instskip(NEXT) | instid1(VALU_DEP_4)
	v_sub_nc_u16 v24, v8, v24
	v_sub_nc_u16 v6, v6, v26
	s_delay_alu instid0(VALU_DEP_2) | instskip(NEXT) | instid1(VALU_DEP_2)
	v_and_b32_e32 v24, 0xff, v24
	v_and_b32_e32 v6, 0xffff, v6
	s_delay_alu instid0(VALU_DEP_2) | instskip(NEXT) | instid1(VALU_DEP_2)
	v_mul_u32_u24_e32 v26, 6, v24
	v_mul_u32_u24_e32 v28, 6, v6
	v_lshlrev_b32_e32 v24, 1, v24
	s_delay_alu instid0(VALU_DEP_3) | instskip(NEXT) | instid1(VALU_DEP_3)
	v_lshlrev_b32_e32 v26, 2, v26
	v_lshlrev_b32_e32 v28, 2, v28
	s_clause 0x3
	global_load_b128 v[45:48], v26, s[8:9] offset:96
	global_load_b64 v[53:54], v26, s[8:9] offset:112
	global_load_b128 v[49:52], v28, s[8:9] offset:96
	global_load_b64 v[55:56], v28, s[8:9] offset:112
	v_mul_u32_u24_e32 v26, 0x16c, v22
	v_lshlrev_b32_e32 v22, 1, v6
	global_wb scope:SCOPE_SE
	s_wait_loadcnt 0x0
	s_barrier_signal -1
	s_barrier_wait -1
	v_add3_u32 v24, 0, v26, v24
	global_inv scope:SCOPE_SE
	v_lshrrev_b32_e32 v31, 16, v53
	v_lshrrev_b32_e32 v6, 16, v45
	;; [unrolled: 1-line block ×9, first 2 shown]
	v_mul_f16_e32 v67, v34, v6
	v_mul_f16_e32 v39, v21, v6
	;; [unrolled: 1-line block ×5, first 2 shown]
	v_lshrrev_b32_e32 v65, 16, v55
	v_mul_f16_e32 v40, v20, v26
	v_mul_f16_e32 v69, v32, v28
	;; [unrolled: 1-line block ×12, first 2 shown]
	v_fma_f16 v44, v21, v45, -v67
	v_fmac_f16_e32 v39, v34, v45
	v_fma_f16 v34, v20, v46, -v68
	v_fma_f16 v17, v17, v53, -v71
	;; [unrolled: 1-line block ×3, first 2 shown]
	v_mul_f16_e32 v31, v10, v64
	v_mul_f16_e32 v37, v62, v65
	v_fmac_f16_e32 v40, v33, v46
	v_fma_f16 v33, v19, v47, -v69
	v_fmac_f16_e32 v6, v32, v47
	v_fma_f16 v18, v18, v48, -v70
	v_fmac_f16_e32 v41, v30, v48
	v_fmac_f16_e32 v42, v27, v53
	;; [unrolled: 1-line block ×3, first 2 shown]
	v_fma_f16 v19, v11, v50, -v74
	v_fma_f16 v25, v10, v52, -v63
	v_add_f16_e32 v10, v44, v16
	v_add_f16_e32 v11, v34, v17
	v_mul_f16_e32 v64, v35, v65
	v_fmac_f16_e32 v26, v36, v51
	v_fmac_f16_e32 v37, v35, v55
	v_add_f16_e32 v32, v33, v18
	v_sub_f16_e32 v35, v40, v42
	v_sub_f16_e32 v36, v41, v6
	v_add_f16_e32 v45, v11, v10
	v_sub_f16_e32 v30, v39, v43
	v_lshrrev_b32_e32 v38, 16, v49
	v_sub_f16_e32 v46, v11, v10
	v_sub_f16_e32 v10, v10, v32
	;; [unrolled: 1-line block ×3, first 2 shown]
	v_add_f16_e32 v47, v36, v35
	v_sub_f16_e32 v48, v36, v35
	v_add_f16_e32 v32, v32, v45
	v_sub_f16_e32 v35, v35, v30
	v_mul_f16_e32 v73, v58, v38
	v_mul_f16_e32 v28, v57, v38
	v_sub_f16_e32 v36, v30, v36
	v_add_f16_e32 v30, v47, v30
	v_mul_f16_e32 v10, 0x3a52, v10
	v_mul_f16_e32 v47, 0xb846, v48
	v_add_f16_e32 v14, v14, v32
	v_mul_f16_e32 v48, 0x3b00, v35
	v_mul_f16_e32 v45, 0x2b26, v11
	v_lshrrev_b32_e32 v66, 16, v56
	v_fma_f16 v20, v57, v49, -v73
	v_fmac_f16_e32 v28, v58, v49
	v_fmamk_f16 v11, v11, 0x2b26, v10
	v_fmamk_f16 v49, v36, 0x3574, v47
	;; [unrolled: 1-line block ×3, first 2 shown]
	v_fma_f16 v36, v36, 0xb574, -v48
	v_fma_f16 v10, v46, 0xb9e0, -v10
	;; [unrolled: 1-line block ×4, first 2 shown]
	v_mul_f16_e32 v65, v12, v66
	v_mul_f16_e32 v38, v15, v66
	v_fmac_f16_e32 v49, 0x370e, v30
	v_add_f16_e32 v11, v11, v32
	v_fmac_f16_e32 v36, 0x370e, v30
	v_add_f16_e32 v10, v10, v32
	;; [unrolled: 2-line block ×3, first 2 shown]
	v_fmac_f16_e32 v29, v59, v50
	v_fma_f16 v21, v60, v51, -v75
	v_fmac_f16_e32 v31, v61, v52
	v_fma_f16 v27, v62, v55, -v64
	v_fma_f16 v30, v15, v56, -v65
	v_fmac_f16_e32 v38, v12, v56
	v_add_f16_e32 v12, v49, v11
	v_add_f16_e32 v15, v36, v10
	v_sub_f16_e32 v45, v32, v35
	v_add_f16_e32 v32, v35, v32
	v_sub_f16_e32 v10, v10, v36
	v_sub_f16_e32 v11, v11, v49
	ds_store_b16 v24, v14
	ds_store_b16 v24, v12 offset:52
	ds_store_b16 v24, v15 offset:104
	;; [unrolled: 1-line block ×6, first 2 shown]
	s_and_saveexec_b32 s1, s0
	s_cbranch_execz .LBB0_33
; %bb.32:
	v_add_f16_e32 v10, v20, v30
	v_add_f16_e32 v11, v19, v27
	;; [unrolled: 1-line block ×3, first 2 shown]
	v_sub_f16_e32 v14, v28, v38
	v_sub_f16_e32 v15, v31, v26
	;; [unrolled: 1-line block ×3, first 2 shown]
	v_add_f16_e32 v32, v11, v10
	v_sub_f16_e32 v36, v10, v12
	v_sub_f16_e32 v45, v12, v11
	;; [unrolled: 1-line block ×4, first 2 shown]
	v_add_f16_e32 v12, v12, v32
	v_sub_f16_e32 v32, v15, v35
	v_add_f16_e32 v15, v15, v35
	v_sub_f16_e32 v35, v35, v14
	v_mul_f16_e32 v11, 0x3a52, v36
	v_add_f16_e32 v7, v7, v12
	v_mul_f16_e32 v32, 0xb846, v32
	v_add_f16_e32 v14, v15, v14
	v_mul_f16_e32 v47, 0x3b00, v35
	v_fmamk_f16 v15, v45, 0x2b26, v11
	v_mul_f16_e32 v45, 0x2b26, v45
	v_fmamk_f16 v36, v46, 0x3574, v32
	v_fmamk_f16 v12, v12, 0xbcab, v7
	v_fma_f16 v46, v46, 0xb574, -v47
	v_and_b32_e32 v47, 0xffff, v23
	v_fma_f16 v11, v10, 0xb9e0, -v11
	v_fma_f16 v32, v35, 0x3b00, -v32
	;; [unrolled: 1-line block ×3, first 2 shown]
	v_add_f16_e32 v15, v15, v12
	v_lshlrev_b32_e32 v35, 1, v47
	v_fmac_f16_e32 v36, 0x370e, v14
	v_add_f16_e32 v11, v11, v12
	v_fmac_f16_e32 v46, 0x370e, v14
	v_fmac_f16_e32 v32, 0x370e, v14
	v_add_f16_e32 v10, v10, v12
	v_add3_u32 v14, 0, v22, v35
	v_sub_f16_e32 v45, v15, v36
	v_add_f16_e32 v15, v36, v15
	v_sub_f16_e32 v12, v11, v46
	v_add_f16_e32 v11, v46, v11
	;; [unrolled: 2-line block ×3, first 2 shown]
	ds_store_b16 v14, v7
	ds_store_b16 v14, v15 offset:52
	ds_store_b16 v14, v11 offset:104
	;; [unrolled: 1-line block ×6, first 2 shown]
.LBB0_33:
	s_wait_alu 0xfffe
	s_or_b32 exec_lo, exec_lo, s1
	v_add_f16_e32 v7, v39, v43
	v_add_f16_e32 v10, v40, v42
	v_sub_f16_e32 v11, v44, v16
	v_add_f16_e32 v6, v6, v41
	v_sub_f16_e32 v12, v34, v17
	v_sub_f16_e32 v14, v18, v33
	v_add_f16_e32 v15, v10, v7
	v_sub_f16_e32 v16, v10, v7
	v_sub_f16_e32 v7, v7, v6
	;; [unrolled: 1-line block ×3, first 2 shown]
	v_add_f16_e32 v17, v14, v12
	v_add_f16_e32 v6, v6, v15
	v_sub_f16_e32 v15, v14, v12
	v_sub_f16_e32 v12, v12, v11
	;; [unrolled: 1-line block ×3, first 2 shown]
	v_add_f16_e32 v11, v17, v11
	v_add_f16_e32 v32, v9, v6
	v_mul_f16_e32 v7, 0x3a52, v7
	v_mul_f16_e32 v9, 0x2b26, v10
	;; [unrolled: 1-line block ×4, first 2 shown]
	v_fmamk_f16 v6, v6, 0xbcab, v32
	v_fmamk_f16 v10, v10, 0x2b26, v7
	v_fma_f16 v9, v16, 0x39e0, -v9
	v_fma_f16 v7, v16, 0xb9e0, -v7
	v_fmamk_f16 v33, v14, 0x3574, v15
	v_fma_f16 v34, v12, 0x3b00, -v15
	v_fma_f16 v35, v14, 0xb574, -v17
	v_add_f16_e32 v36, v10, v6
	v_add_f16_e32 v39, v9, v6
	;; [unrolled: 1-line block ×3, first 2 shown]
	v_fmac_f16_e32 v33, 0x370e, v11
	v_fmac_f16_e32 v34, 0x370e, v11
	;; [unrolled: 1-line block ×3, first 2 shown]
	global_wb scope:SCOPE_SE
	s_wait_dscnt 0x0
	s_barrier_signal -1
	s_barrier_wait -1
	global_inv scope:SCOPE_SE
	ds_load_u16 v6, v0
	ds_load_u16 v16, v0 offset:364
	ds_load_u16 v14, v0 offset:728
	;; [unrolled: 1-line block ×10, first 2 shown]
	v_sub_f16_e32 v41, v36, v33
	v_sub_f16_e32 v42, v40, v35
	v_add_f16_e32 v43, v34, v39
	v_sub_f16_e32 v34, v39, v34
	v_add_f16_e32 v35, v35, v40
	v_add_f16_e32 v33, v33, v36
	global_wb scope:SCOPE_SE
	s_wait_dscnt 0x0
	s_barrier_signal -1
	s_barrier_wait -1
	global_inv scope:SCOPE_SE
	ds_store_b16 v24, v32
	ds_store_b16 v24, v41 offset:52
	ds_store_b16 v24, v42 offset:104
	;; [unrolled: 1-line block ×6, first 2 shown]
	s_and_saveexec_b32 s1, s0
	s_cbranch_execz .LBB0_35
; %bb.34:
	v_add_f16_e32 v24, v28, v38
	v_add_f16_e32 v28, v29, v37
	;; [unrolled: 1-line block ×3, first 2 shown]
	v_sub_f16_e32 v19, v19, v27
	v_sub_f16_e32 v21, v25, v21
	;; [unrolled: 1-line block ×3, first 2 shown]
	v_add_f16_e32 v25, v28, v24
	v_sub_f16_e32 v27, v28, v24
	v_sub_f16_e32 v24, v24, v26
	v_sub_f16_e32 v28, v26, v28
	v_add_f16_e32 v29, v21, v19
	v_add_f16_e32 v25, v26, v25
	v_sub_f16_e32 v26, v21, v19
	v_sub_f16_e32 v19, v19, v20
	;; [unrolled: 1-line block ×3, first 2 shown]
	v_add_f16_e32 v20, v29, v20
	v_add_f16_e32 v13, v13, v25
	v_mul_f16_e32 v24, 0x3a52, v24
	v_mul_f16_e32 v29, 0x2b26, v28
	v_mul_f16_e32 v26, 0xb846, v26
	v_mul_f16_e32 v30, 0x3b00, v19
	v_and_b32_e32 v23, 0xffff, v23
	v_fmamk_f16 v25, v25, 0xbcab, v13
	v_fmamk_f16 v28, v28, 0x2b26, v24
	v_fma_f16 v29, v27, 0x39e0, -v29
	v_fma_f16 v24, v27, 0xb9e0, -v24
	v_fmamk_f16 v27, v21, 0x3574, v26
	v_fma_f16 v21, v21, 0xb574, -v30
	v_fma_f16 v19, v19, 0x3b00, -v26
	v_lshlrev_b32_e32 v23, 1, v23
	v_add_f16_e32 v26, v28, v25
	v_fmac_f16_e32 v27, 0x370e, v20
	v_add_f16_e32 v24, v24, v25
	v_fmac_f16_e32 v21, 0x370e, v20
	;; [unrolled: 2-line block ×3, first 2 shown]
	v_add3_u32 v22, 0, v22, v23
	v_sub_f16_e32 v20, v26, v27
	v_sub_f16_e32 v25, v24, v21
	v_add_f16_e32 v21, v21, v24
	v_add_f16_e32 v23, v19, v28
	v_sub_f16_e32 v19, v28, v19
	v_add_f16_e32 v24, v27, v26
	ds_store_b16 v22, v13
	ds_store_b16 v22, v20 offset:52
	ds_store_b16 v22, v25 offset:104
	;; [unrolled: 1-line block ×6, first 2 shown]
.LBB0_35:
	s_wait_alu 0xfffe
	s_or_b32 exec_lo, exec_lo, s1
	global_wb scope:SCOPE_SE
	s_wait_dscnt 0x0
	s_barrier_signal -1
	s_barrier_wait -1
	global_inv scope:SCOPE_SE
	s_and_saveexec_b32 s0, vcc_lo
	s_cbranch_execz .LBB0_37
; %bb.36:
	v_mul_u32_u24_e32 v8, 10, v8
	v_mul_lo_u32 v13, s2, v5
	v_lshlrev_b64_e32 v[1:2], 2, v[1:2]
	s_delay_alu instid0(VALU_DEP_3)
	v_lshlrev_b32_e32 v8, 2, v8
	s_clause 0x2
	global_load_b64 v[29:30], v8, s[8:9] offset:752
	global_load_b128 v[21:24], v8, s[8:9] offset:720
	global_load_b128 v[25:28], v8, s[8:9] offset:736
	v_mul_lo_u32 v8, s3, v4
	v_mad_co_u64_u32 v[4:5], null, s2, v4, 0
	ds_load_u16 v33, v0 offset:1092
	ds_load_u16 v34, v0 offset:1456
	;; [unrolled: 1-line block ×5, first 2 shown]
	v_add3_u32 v5, v5, v13, v8
	ds_load_u16 v8, v0 offset:728
	ds_load_u16 v38, v0 offset:364
	ds_load_u16 v20, v0
	v_lshlrev_b64_e32 v[31:32], 2, v[4:5]
	v_mov_b32_e32 v4, 0
	s_delay_alu instid0(VALU_DEP_1) | instskip(NEXT) | instid1(VALU_DEP_3)
	v_lshlrev_b64_e32 v[3:4], 2, v[3:4]
	v_add_co_u32 v5, vcc_lo, s6, v31
	s_wait_alu 0xfffd
	s_delay_alu instid0(VALU_DEP_4)
	v_add_co_ci_u32_e32 v13, vcc_lo, s7, v32, vcc_lo
	ds_load_u16 v31, v0 offset:3640
	ds_load_u16 v32, v0 offset:3276
	;; [unrolled: 1-line block ×3, first 2 shown]
	v_add_co_u32 v1, vcc_lo, v5, v1
	s_wait_alu 0xfffd
	v_add_co_ci_u32_e32 v2, vcc_lo, v13, v2, vcc_lo
	s_delay_alu instid0(VALU_DEP_2) | instskip(SKIP_1) | instid1(VALU_DEP_2)
	v_add_co_u32 v0, vcc_lo, v1, v3
	s_wait_alu 0xfffd
	v_add_co_ci_u32_e32 v1, vcc_lo, v2, v4, vcc_lo
	s_wait_loadcnt 0x2
	v_lshrrev_b32_e32 v4, 16, v30
	s_wait_loadcnt 0x1
	v_lshrrev_b32_e32 v5, 16, v21
	v_lshrrev_b32_e32 v3, 16, v29
	;; [unrolled: 1-line block ×5, first 2 shown]
	s_wait_loadcnt 0x0
	v_lshrrev_b32_e32 v41, 16, v25
	v_lshrrev_b32_e32 v42, 16, v26
	;; [unrolled: 1-line block ×4, first 2 shown]
	v_mul_f16_e32 v45, v16, v5
	s_wait_dscnt 0x4
	v_mul_f16_e32 v46, v38, v5
	s_wait_dscnt 0x2
	v_mul_f16_e32 v47, v31, v4
	v_mul_f16_e32 v2, v18, v4
	;; [unrolled: 1-line block ×5, first 2 shown]
	s_wait_dscnt 0x1
	v_mul_f16_e32 v50, v32, v3
	v_mul_f16_e32 v5, v15, v44
	;; [unrolled: 1-line block ×8, first 2 shown]
	v_fmac_f16_e32 v45, v38, v21
	v_fma_f16 v16, v16, v21, -v46
	v_fma_f16 v3, v18, v30, -v47
	s_wait_dscnt 0x0
	v_mul_f16_e32 v44, v39, v44
	v_mul_f16_e32 v40, v34, v40
	;; [unrolled: 1-line block ×5, first 2 shown]
	v_fmac_f16_e32 v2, v31, v30
	v_fmac_f16_e32 v4, v32, v29
	;; [unrolled: 1-line block ×3, first 2 shown]
	v_fma_f16 v14, v14, v22, -v49
	v_fma_f16 v8, v17, v29, -v50
	v_fmac_f16_e32 v5, v39, v28
	v_fmac_f16_e32 v51, v33, v23
	;; [unrolled: 1-line block ×6, first 2 shown]
	v_sub_f16_e32 v18, v16, v3
	v_add_f16_e32 v29, v3, v16
	v_add_f16_e32 v16, v6, v16
	;; [unrolled: 1-line block ×3, first 2 shown]
	v_fma_f16 v17, v12, v23, -v52
	v_fma_f16 v12, v15, v28, -v44
	;; [unrolled: 1-line block ×6, first 2 shown]
	v_add_f16_e32 v11, v2, v45
	v_add_f16_e32 v21, v4, v48
	v_sub_f16_e32 v22, v14, v8
	v_add_f16_e32 v23, v5, v51
	v_add_f16_e32 v25, v13, v53
	;; [unrolled: 1-line block ×3, first 2 shown]
	v_sub_f16_e32 v30, v45, v2
	v_add_f16_e32 v31, v8, v14
	v_add_f16_e32 v14, v16, v14
	v_add_f16_e32 v16, v33, v48
	v_sub_f16_e32 v24, v17, v12
	v_sub_f16_e32 v26, v15, v10
	v_sub_f16_e32 v28, v7, v9
	v_sub_f16_e32 v32, v48, v4
	v_sub_f16_e32 v34, v51, v5
	v_sub_f16_e32 v36, v53, v13
	v_sub_f16_e32 v38, v54, v19
	v_mul_f16_e32 v40, 0x3abb, v11
	v_mul_f16_e32 v41, 0x36a6, v21
	;; [unrolled: 1-line block ×30, first 2 shown]
	v_add_f16_e32 v14, v14, v17
	v_add_f16_e32 v16, v16, v51
	;; [unrolled: 1-line block ×5, first 2 shown]
	v_mul_f16_e32 v46, 0xbb47, v32
	v_mul_f16_e32 v57, 0xba0c, v32
	;; [unrolled: 1-line block ×20, first 2 shown]
	v_fmamk_f16 v82, v18, 0x3853, v40
	v_fmamk_f16 v83, v22, 0x3b47, v41
	v_fmamk_f16 v84, v24, 0x3beb, v42
	v_fmamk_f16 v85, v26, 0x3a0c, v43
	v_fmamk_f16 v86, v28, 0x3482, v44
	v_fmamk_f16 v87, v29, 0x3abb, v45
	v_fmamk_f16 v88, v18, 0x3b47, v47
	v_fmamk_f16 v89, v22, 0x3a0c, v49
	v_fmamk_f16 v90, v24, 0xb482, v50
	v_fmamk_f16 v91, v26, 0xbbeb, v52
	v_fmamk_f16 v92, v28, 0xb853, v55
	v_fmamk_f16 v93, v29, 0x36a6, v56
	v_fmamk_f16 v95, v18, 0x3beb, v58
	v_fmamk_f16 v96, v22, 0xb482, v59
	v_fmamk_f16 v97, v24, 0xbb47, v60
	v_fmamk_f16 v98, v26, 0x3853, v61
	v_fmamk_f16 v99, v28, 0x3a0c, v62
	v_fmamk_f16 v100, v29, 0xb08e, v63
	v_fmamk_f16 v102, v18, 0x3a0c, v65
	v_fmamk_f16 v103, v22, 0xbbeb, v66
	v_fmamk_f16 v104, v24, 0x3853, v67
	v_fmamk_f16 v105, v26, 0x3482, v68
	v_fmamk_f16 v106, v28, 0xbb47, v69
	v_fmamk_f16 v107, v29, 0xb93d, v70
	v_fmamk_f16 v109, v18, 0x3482, v11
	v_fmac_f16_e32 v11, 0xb482, v18
	v_fmac_f16_e32 v65, 0xba0c, v18
	v_fmac_f16_e32 v58, 0xbbeb, v18
	v_fmac_f16_e32 v47, 0xbb47, v18
	v_fmac_f16_e32 v40, 0xb853, v18
	v_fmamk_f16 v18, v22, 0xb853, v21
	v_fmac_f16_e32 v21, 0x3853, v22
	v_fmac_f16_e32 v66, 0x3beb, v22
	v_fmac_f16_e32 v59, 0x3482, v22
	v_fmac_f16_e32 v49, 0xba0c, v22
	v_fmac_f16_e32 v41, 0xbb47, v22
	v_fmamk_f16 v22, v24, 0x3a0c, v23
	;; [unrolled: 6-line block ×5, first 2 shown]
	v_fma_f16 v30, v29, 0xbbad, -v30
	v_fma_f16 v70, v29, 0xb93d, -v70
	;; [unrolled: 1-line block ×5, first 2 shown]
	v_add_f16_e32 v14, v14, v15
	v_add_f16_e32 v15, v16, v53
	v_fmamk_f16 v94, v31, 0xb93d, v57
	v_fmamk_f16 v101, v31, 0xbbad, v64
	;; [unrolled: 1-line block ×4, first 2 shown]
	v_fma_f16 v32, v31, 0x3abb, -v32
	v_fma_f16 v71, v31, 0xb08e, -v71
	;; [unrolled: 1-line block ×4, first 2 shown]
	v_fmamk_f16 v110, v31, 0x36a6, v46
	v_fma_f16 v31, v31, 0x36a6, -v46
	v_fmamk_f16 v46, v35, 0xb93d, v34
	v_fma_f16 v34, v35, 0xb93d, -v34
	;; [unrolled: 2-line block ×16, first 2 shown]
	v_add_f16_e32 v17, v20, v82
	v_add_f16_e32 v51, v20, v88
	;; [unrolled: 1-line block ×110, first 2 shown]
	v_pack_b32_f16 v5, v6, v9
	v_pack_b32_f16 v6, v12, v26
	v_add_f16_e32 v3, v3, v7
	v_add_f16_e32 v2, v2, v4
	v_pack_b32_f16 v8, v20, v25
	v_pack_b32_f16 v9, v24, v23
	;; [unrolled: 1-line block ×9, first 2 shown]
	s_clause 0xa
	global_store_b32 v[0:1], v6, off offset:1456
	global_store_b32 v[0:1], v8, off offset:2184
	;; [unrolled: 1-line block ×7, first 2 shown]
	global_store_b32 v[0:1], v2, off
	global_store_b32 v[0:1], v7, off offset:5824
	global_store_b32 v[0:1], v14, off offset:6552
	;; [unrolled: 1-line block ×3, first 2 shown]
.LBB0_37:
	s_nop 0
	s_sendmsg sendmsg(MSG_DEALLOC_VGPRS)
	s_endpgm
	.section	.rodata,"a",@progbits
	.p2align	6, 0x0
	.amdhsa_kernel fft_rtc_fwd_len2002_factors_2_13_7_11_wgs_182_tpt_182_halfLds_half_op_CI_CI_unitstride_sbrr_dirReg
		.amdhsa_group_segment_fixed_size 0
		.amdhsa_private_segment_fixed_size 0
		.amdhsa_kernarg_size 104
		.amdhsa_user_sgpr_count 2
		.amdhsa_user_sgpr_dispatch_ptr 0
		.amdhsa_user_sgpr_queue_ptr 0
		.amdhsa_user_sgpr_kernarg_segment_ptr 1
		.amdhsa_user_sgpr_dispatch_id 0
		.amdhsa_user_sgpr_private_segment_size 0
		.amdhsa_wavefront_size32 1
		.amdhsa_uses_dynamic_stack 0
		.amdhsa_enable_private_segment 0
		.amdhsa_system_sgpr_workgroup_id_x 1
		.amdhsa_system_sgpr_workgroup_id_y 0
		.amdhsa_system_sgpr_workgroup_id_z 0
		.amdhsa_system_sgpr_workgroup_info 0
		.amdhsa_system_vgpr_workitem_id 0
		.amdhsa_next_free_vgpr 123
		.amdhsa_next_free_sgpr 39
		.amdhsa_reserve_vcc 1
		.amdhsa_float_round_mode_32 0
		.amdhsa_float_round_mode_16_64 0
		.amdhsa_float_denorm_mode_32 3
		.amdhsa_float_denorm_mode_16_64 3
		.amdhsa_fp16_overflow 0
		.amdhsa_workgroup_processor_mode 1
		.amdhsa_memory_ordered 1
		.amdhsa_forward_progress 0
		.amdhsa_round_robin_scheduling 0
		.amdhsa_exception_fp_ieee_invalid_op 0
		.amdhsa_exception_fp_denorm_src 0
		.amdhsa_exception_fp_ieee_div_zero 0
		.amdhsa_exception_fp_ieee_overflow 0
		.amdhsa_exception_fp_ieee_underflow 0
		.amdhsa_exception_fp_ieee_inexact 0
		.amdhsa_exception_int_div_zero 0
	.end_amdhsa_kernel
	.text
.Lfunc_end0:
	.size	fft_rtc_fwd_len2002_factors_2_13_7_11_wgs_182_tpt_182_halfLds_half_op_CI_CI_unitstride_sbrr_dirReg, .Lfunc_end0-fft_rtc_fwd_len2002_factors_2_13_7_11_wgs_182_tpt_182_halfLds_half_op_CI_CI_unitstride_sbrr_dirReg
                                        ; -- End function
	.section	.AMDGPU.csdata,"",@progbits
; Kernel info:
; codeLenInByte = 10796
; NumSgprs: 41
; NumVgprs: 123
; ScratchSize: 0
; MemoryBound: 0
; FloatMode: 240
; IeeeMode: 1
; LDSByteSize: 0 bytes/workgroup (compile time only)
; SGPRBlocks: 5
; VGPRBlocks: 15
; NumSGPRsForWavesPerEU: 41
; NumVGPRsForWavesPerEU: 123
; Occupancy: 10
; WaveLimiterHint : 1
; COMPUTE_PGM_RSRC2:SCRATCH_EN: 0
; COMPUTE_PGM_RSRC2:USER_SGPR: 2
; COMPUTE_PGM_RSRC2:TRAP_HANDLER: 0
; COMPUTE_PGM_RSRC2:TGID_X_EN: 1
; COMPUTE_PGM_RSRC2:TGID_Y_EN: 0
; COMPUTE_PGM_RSRC2:TGID_Z_EN: 0
; COMPUTE_PGM_RSRC2:TIDIG_COMP_CNT: 0
	.text
	.p2alignl 7, 3214868480
	.fill 96, 4, 3214868480
	.type	__hip_cuid_df53802f3bea77dc,@object ; @__hip_cuid_df53802f3bea77dc
	.section	.bss,"aw",@nobits
	.globl	__hip_cuid_df53802f3bea77dc
__hip_cuid_df53802f3bea77dc:
	.byte	0                               ; 0x0
	.size	__hip_cuid_df53802f3bea77dc, 1

	.ident	"AMD clang version 19.0.0git (https://github.com/RadeonOpenCompute/llvm-project roc-6.4.0 25133 c7fe45cf4b819c5991fe208aaa96edf142730f1d)"
	.section	".note.GNU-stack","",@progbits
	.addrsig
	.addrsig_sym __hip_cuid_df53802f3bea77dc
	.amdgpu_metadata
---
amdhsa.kernels:
  - .args:
      - .actual_access:  read_only
        .address_space:  global
        .offset:         0
        .size:           8
        .value_kind:     global_buffer
      - .offset:         8
        .size:           8
        .value_kind:     by_value
      - .actual_access:  read_only
        .address_space:  global
        .offset:         16
        .size:           8
        .value_kind:     global_buffer
      - .actual_access:  read_only
        .address_space:  global
        .offset:         24
        .size:           8
        .value_kind:     global_buffer
      - .actual_access:  read_only
        .address_space:  global
        .offset:         32
        .size:           8
        .value_kind:     global_buffer
      - .offset:         40
        .size:           8
        .value_kind:     by_value
      - .actual_access:  read_only
        .address_space:  global
        .offset:         48
        .size:           8
        .value_kind:     global_buffer
      - .actual_access:  read_only
        .address_space:  global
        .offset:         56
        .size:           8
        .value_kind:     global_buffer
      - .offset:         64
        .size:           4
        .value_kind:     by_value
      - .actual_access:  read_only
        .address_space:  global
        .offset:         72
        .size:           8
        .value_kind:     global_buffer
      - .actual_access:  read_only
        .address_space:  global
        .offset:         80
        .size:           8
        .value_kind:     global_buffer
      - .actual_access:  read_only
        .address_space:  global
        .offset:         88
        .size:           8
        .value_kind:     global_buffer
      - .actual_access:  write_only
        .address_space:  global
        .offset:         96
        .size:           8
        .value_kind:     global_buffer
    .group_segment_fixed_size: 0
    .kernarg_segment_align: 8
    .kernarg_segment_size: 104
    .language:       OpenCL C
    .language_version:
      - 2
      - 0
    .max_flat_workgroup_size: 182
    .name:           fft_rtc_fwd_len2002_factors_2_13_7_11_wgs_182_tpt_182_halfLds_half_op_CI_CI_unitstride_sbrr_dirReg
    .private_segment_fixed_size: 0
    .sgpr_count:     41
    .sgpr_spill_count: 0
    .symbol:         fft_rtc_fwd_len2002_factors_2_13_7_11_wgs_182_tpt_182_halfLds_half_op_CI_CI_unitstride_sbrr_dirReg.kd
    .uniform_work_group_size: 1
    .uses_dynamic_stack: false
    .vgpr_count:     123
    .vgpr_spill_count: 0
    .wavefront_size: 32
    .workgroup_processor_mode: 1
amdhsa.target:   amdgcn-amd-amdhsa--gfx1201
amdhsa.version:
  - 1
  - 2
...

	.end_amdgpu_metadata
